;; amdgpu-corpus repo=ROCm/rocFFT kind=compiled arch=gfx906 opt=O3
	.text
	.amdgcn_target "amdgcn-amd-amdhsa--gfx906"
	.amdhsa_code_object_version 6
	.protected	fft_rtc_fwd_len100_factors_5_5_4_wgs_200_tpt_25_halfLds_dp_op_CI_CI_sbcc_twdbase8_3step_dirReg_intrinsicRead ; -- Begin function fft_rtc_fwd_len100_factors_5_5_4_wgs_200_tpt_25_halfLds_dp_op_CI_CI_sbcc_twdbase8_3step_dirReg_intrinsicRead
	.globl	fft_rtc_fwd_len100_factors_5_5_4_wgs_200_tpt_25_halfLds_dp_op_CI_CI_sbcc_twdbase8_3step_dirReg_intrinsicRead
	.p2align	8
	.type	fft_rtc_fwd_len100_factors_5_5_4_wgs_200_tpt_25_halfLds_dp_op_CI_CI_sbcc_twdbase8_3step_dirReg_intrinsicRead,@function
fft_rtc_fwd_len100_factors_5_5_4_wgs_200_tpt_25_halfLds_dp_op_CI_CI_sbcc_twdbase8_3step_dirReg_intrinsicRead: ; @fft_rtc_fwd_len100_factors_5_5_4_wgs_200_tpt_25_halfLds_dp_op_CI_CI_sbcc_twdbase8_3step_dirReg_intrinsicRead
; %bb.0:
	s_load_dwordx4 s[0:3], s[4:5], 0x18
	s_load_dwordx2 s[26:27], s[4:5], 0x28
	s_mov_b32 s7, 0
	s_mov_b64 s[28:29], 0
	s_waitcnt lgkmcnt(0)
	s_load_dwordx2 s[24:25], s[0:1], 0x8
	s_waitcnt lgkmcnt(0)
	s_add_u32 s8, s24, -1
	s_addc_u32 s9, s25, -1
	s_lshr_b64 s[8:9], s[8:9], 3
	s_add_u32 s34, s8, 1
	s_addc_u32 s35, s9, 0
	v_mov_b32_e32 v1, s34
	v_mov_b32_e32 v2, s35
	v_cmp_lt_u64_e32 vcc, s[6:7], v[1:2]
	s_cbranch_vccnz .LBB0_2
; %bb.1:
	v_cvt_f32_u32_e32 v1, s34
	s_sub_i32 s8, 0, s34
	s_mov_b32 s29, s7
	v_rcp_iflag_f32_e32 v1, v1
	v_mul_f32_e32 v1, 0x4f7ffffe, v1
	v_cvt_u32_f32_e32 v1, v1
	v_readfirstlane_b32 s9, v1
	s_mul_i32 s8, s8, s9
	s_mul_hi_u32 s8, s9, s8
	s_add_i32 s9, s9, s8
	s_mul_hi_u32 s8, s6, s9
	s_mul_i32 s10, s8, s34
	s_sub_i32 s10, s6, s10
	s_add_i32 s9, s8, 1
	s_sub_i32 s11, s10, s34
	s_cmp_ge_u32 s10, s34
	s_cselect_b32 s8, s9, s8
	s_cselect_b32 s10, s11, s10
	s_add_i32 s9, s8, 1
	s_cmp_ge_u32 s10, s34
	s_cselect_b32 s28, s9, s8
.LBB0_2:
	s_mul_i32 s16, s28, s35
	s_mul_hi_u32 s17, s28, s34
	s_load_dwordx4 s[12:15], s[4:5], 0x60
	s_load_dwordx4 s[20:23], s[2:3], 0x0
	;; [unrolled: 1-line block ×3, first 2 shown]
	s_add_i32 s17, s17, s16
	s_mul_i32 s16, s28, s34
	s_sub_u32 s36, s6, s16
	s_subb_u32 s37, 0, s17
	v_mov_b32_e32 v1, s36
	v_alignbit_b32 v1, s37, v1, 29
	s_waitcnt lgkmcnt(0)
	v_mul_lo_u32 v2, s22, v1
	s_load_dwordx2 s[30:31], s[4:5], 0x0
	s_load_dwordx4 s[16:19], s[4:5], 0x8
	s_lshl_b64 s[4:5], s[36:37], 3
	s_mul_hi_u32 s21, s22, s4
	v_mul_lo_u32 v1, s10, v1
	v_add_u32_e32 v2, s21, v2
	s_mul_i32 s21, s23, s4
	v_add_u32_e32 v4, s21, v2
	s_mul_i32 s21, s22, s4
	v_mov_b32_e32 v3, s21
	s_mul_hi_u32 s21, s10, s4
	v_add_u32_e32 v1, s21, v1
	s_mul_i32 s21, s11, s4
	s_waitcnt lgkmcnt(0)
	v_cmp_lt_u64_e64 s[36:37], s[18:19], 3
	v_add_u32_e32 v30, s21, v1
	s_mul_i32 s21, s10, s4
	v_mov_b32_e32 v29, s21
	s_and_b64 vcc, exec, s[36:37]
	s_cbranch_vccnz .LBB0_11
; %bb.3:
	s_add_u32 s36, s26, 16
	s_addc_u32 s37, s27, 0
	s_add_u32 s38, s2, 16
	s_addc_u32 s39, s3, 0
	s_add_u32 s40, s0, 16
	v_mov_b32_e32 v1, s18
	s_addc_u32 s41, s1, 0
	s_mov_b64 s[42:43], 2
	s_mov_b32 s44, 0
	v_mov_b32_e32 v2, s19
	s_branch .LBB0_5
.LBB0_4:                                ;   in Loop: Header=BB0_5 Depth=1
	s_mul_i32 s21, s46, s35
	s_mul_hi_u32 s23, s46, s34
	s_add_i32 s21, s23, s21
	s_mul_i32 s23, s47, s34
	s_add_i32 s35, s21, s23
	s_mul_i32 s21, s0, s47
	s_mul_hi_u32 s23, s0, s46
	s_load_dwordx2 s[48:49], s[38:39], 0x0
	s_add_i32 s21, s23, s21
	s_mul_i32 s23, s1, s46
	s_add_i32 s21, s21, s23
	s_mul_i32 s23, s0, s46
	s_sub_u32 s23, s28, s23
	s_subb_u32 s21, s29, s21
	s_waitcnt lgkmcnt(0)
	s_mul_i32 s28, s48, s21
	s_mul_hi_u32 s29, s48, s23
	s_add_i32 s28, s29, s28
	s_mul_i32 s29, s49, s23
	s_add_i32 s28, s28, s29
	v_mov_b32_e32 v5, s28
	s_load_dwordx2 s[28:29], s[36:37], 0x0
	s_mul_i32 s33, s48, s23
	v_add_co_u32_e32 v3, vcc, s33, v3
	v_addc_co_u32_e32 v4, vcc, v5, v4, vcc
	s_waitcnt lgkmcnt(0)
	s_mul_i32 s21, s28, s21
	s_mul_hi_u32 s33, s28, s23
	s_add_i32 s21, s33, s21
	s_mul_i32 s29, s29, s23
	s_add_i32 s21, s21, s29
	s_add_u32 s42, s42, 1
	s_addc_u32 s43, s43, 0
	s_mul_i32 s23, s28, s23
	s_add_u32 s36, s36, 8
	v_mov_b32_e32 v5, s21
	v_add_co_u32_e32 v29, vcc, s23, v29
	s_addc_u32 s37, s37, 0
	v_addc_co_u32_e32 v30, vcc, v5, v30, vcc
	s_add_u32 s38, s38, 8
	s_addc_u32 s39, s39, 0
	v_cmp_ge_u64_e32 vcc, s[42:43], v[1:2]
	s_add_u32 s40, s40, 8
	s_mul_i32 s34, s46, s34
	s_addc_u32 s41, s41, 0
	s_mov_b64 s[28:29], s[0:1]
	s_cbranch_vccnz .LBB0_9
.LBB0_5:                                ; =>This Inner Loop Header: Depth=1
	s_load_dwordx2 s[46:47], s[40:41], 0x0
	s_waitcnt lgkmcnt(0)
	s_or_b64 s[0:1], s[28:29], s[46:47]
	s_mov_b32 s45, s1
	s_cmp_lg_u64 s[44:45], 0
	s_cbranch_scc0 .LBB0_7
; %bb.6:                                ;   in Loop: Header=BB0_5 Depth=1
	v_cvt_f32_u32_e32 v5, s46
	v_cvt_f32_u32_e32 v6, s47
	s_sub_u32 s0, 0, s46
	s_subb_u32 s1, 0, s47
	v_mac_f32_e32 v5, 0x4f800000, v6
	v_rcp_f32_e32 v5, v5
	v_mul_f32_e32 v5, 0x5f7ffffc, v5
	v_mul_f32_e32 v6, 0x2f800000, v5
	v_trunc_f32_e32 v6, v6
	v_mac_f32_e32 v5, 0xcf800000, v6
	v_cvt_u32_f32_e32 v6, v6
	v_cvt_u32_f32_e32 v5, v5
	v_readfirstlane_b32 s21, v6
	v_readfirstlane_b32 s23, v5
	s_mul_i32 s33, s0, s21
	s_mul_hi_u32 s48, s0, s23
	s_mul_i32 s45, s1, s23
	s_add_i32 s33, s48, s33
	s_mul_i32 s49, s0, s23
	s_add_i32 s33, s33, s45
	s_mul_hi_u32 s45, s23, s33
	s_mul_i32 s48, s23, s33
	s_mul_hi_u32 s23, s23, s49
	s_add_u32 s23, s23, s48
	s_addc_u32 s45, 0, s45
	s_mul_hi_u32 s50, s21, s49
	s_mul_i32 s49, s21, s49
	s_add_u32 s23, s23, s49
	s_mul_hi_u32 s48, s21, s33
	s_addc_u32 s23, s45, s50
	s_addc_u32 s45, s48, 0
	s_mul_i32 s33, s21, s33
	s_add_u32 s23, s23, s33
	s_addc_u32 s33, 0, s45
	v_add_co_u32_e32 v5, vcc, s23, v5
	s_cmp_lg_u64 vcc, 0
	s_addc_u32 s21, s21, s33
	v_readfirstlane_b32 s33, v5
	s_mul_i32 s23, s0, s21
	s_mul_hi_u32 s45, s0, s33
	s_add_i32 s23, s45, s23
	s_mul_i32 s1, s1, s33
	s_add_i32 s23, s23, s1
	s_mul_i32 s0, s0, s33
	s_mul_hi_u32 s45, s21, s0
	s_mul_i32 s48, s21, s0
	s_mul_i32 s50, s33, s23
	s_mul_hi_u32 s0, s33, s0
	s_mul_hi_u32 s49, s33, s23
	s_add_u32 s0, s0, s50
	s_addc_u32 s33, 0, s49
	s_add_u32 s0, s0, s48
	s_mul_hi_u32 s1, s21, s23
	s_addc_u32 s0, s33, s45
	s_addc_u32 s1, s1, 0
	s_mul_i32 s23, s21, s23
	s_add_u32 s0, s0, s23
	s_addc_u32 s1, 0, s1
	v_add_co_u32_e32 v5, vcc, s0, v5
	s_cmp_lg_u64 vcc, 0
	s_addc_u32 s0, s21, s1
	v_readfirstlane_b32 s23, v5
	s_mul_i32 s21, s28, s0
	s_mul_hi_u32 s33, s28, s23
	s_mul_hi_u32 s1, s28, s0
	s_add_u32 s21, s33, s21
	s_addc_u32 s1, 0, s1
	s_mul_hi_u32 s45, s29, s23
	s_mul_i32 s23, s29, s23
	s_add_u32 s21, s21, s23
	s_mul_hi_u32 s33, s29, s0
	s_addc_u32 s1, s1, s45
	s_addc_u32 s21, s33, 0
	s_mul_i32 s0, s29, s0
	s_add_u32 s23, s1, s0
	s_addc_u32 s21, 0, s21
	s_mul_i32 s0, s46, s21
	s_mul_hi_u32 s1, s46, s23
	s_add_i32 s0, s1, s0
	s_mul_i32 s1, s47, s23
	s_add_i32 s33, s0, s1
	s_mul_i32 s1, s46, s23
	v_mov_b32_e32 v5, s1
	s_sub_i32 s0, s29, s33
	v_sub_co_u32_e32 v5, vcc, s28, v5
	s_cmp_lg_u64 vcc, 0
	s_subb_u32 s45, s0, s47
	v_subrev_co_u32_e64 v6, s[0:1], s46, v5
	s_cmp_lg_u64 s[0:1], 0
	s_subb_u32 s0, s45, 0
	s_cmp_ge_u32 s0, s47
	v_readfirstlane_b32 s45, v6
	s_cselect_b32 s1, -1, 0
	s_cmp_ge_u32 s45, s46
	s_cselect_b32 s45, -1, 0
	s_cmp_eq_u32 s0, s47
	s_cselect_b32 s0, s45, s1
	s_add_u32 s1, s23, 1
	s_addc_u32 s45, s21, 0
	s_add_u32 s48, s23, 2
	s_addc_u32 s49, s21, 0
	s_cmp_lg_u32 s0, 0
	s_cselect_b32 s0, s48, s1
	s_cselect_b32 s1, s49, s45
	s_cmp_lg_u64 vcc, 0
	s_subb_u32 s33, s29, s33
	s_cmp_ge_u32 s33, s47
	v_readfirstlane_b32 s48, v5
	s_cselect_b32 s45, -1, 0
	s_cmp_ge_u32 s48, s46
	s_cselect_b32 s48, -1, 0
	s_cmp_eq_u32 s33, s47
	s_cselect_b32 s33, s48, s45
	s_cmp_lg_u32 s33, 0
	s_cselect_b32 s1, s1, s21
	s_cselect_b32 s0, s0, s23
	s_cbranch_execnz .LBB0_4
	s_branch .LBB0_8
.LBB0_7:                                ;   in Loop: Header=BB0_5 Depth=1
                                        ; implicit-def: $sgpr0_sgpr1
.LBB0_8:                                ;   in Loop: Header=BB0_5 Depth=1
	v_cvt_f32_u32_e32 v5, s46
	s_sub_i32 s0, 0, s46
	v_rcp_iflag_f32_e32 v5, v5
	v_mul_f32_e32 v5, 0x4f7ffffe, v5
	v_cvt_u32_f32_e32 v5, v5
	v_readfirstlane_b32 s1, v5
	s_mul_i32 s0, s0, s1
	s_mul_hi_u32 s0, s1, s0
	s_add_i32 s1, s1, s0
	s_mul_hi_u32 s0, s28, s1
	s_mul_i32 s21, s0, s46
	s_sub_i32 s21, s28, s21
	s_add_i32 s1, s0, 1
	s_sub_i32 s23, s21, s46
	s_cmp_ge_u32 s21, s46
	s_cselect_b32 s0, s1, s0
	s_cselect_b32 s21, s23, s21
	s_add_i32 s1, s0, 1
	s_cmp_ge_u32 s21, s46
	s_cselect_b32 s0, s1, s0
	s_mov_b32 s1, s44
	s_branch .LBB0_4
.LBB0_9:
	v_mov_b32_e32 v1, s34
	v_mov_b32_e32 v2, s35
	v_cmp_lt_u64_e32 vcc, s[6:7], v[1:2]
	s_mov_b64 s[28:29], 0
	s_cbranch_vccnz .LBB0_11
; %bb.10:
	v_cvt_f32_u32_e32 v1, s34
	s_sub_i32 s0, 0, s34
	v_rcp_iflag_f32_e32 v1, v1
	v_mul_f32_e32 v1, 0x4f7ffffe, v1
	v_cvt_u32_f32_e32 v1, v1
	v_readfirstlane_b32 s1, v1
	s_mul_i32 s0, s0, s1
	s_mul_hi_u32 s0, s1, s0
	s_add_i32 s1, s1, s0
	s_mul_hi_u32 s0, s6, s1
	s_mul_i32 s7, s0, s34
	s_sub_i32 s6, s6, s7
	s_add_i32 s1, s0, 1
	s_sub_i32 s7, s6, s34
	s_cmp_ge_u32 s6, s34
	s_cselect_b32 s0, s1, s0
	s_cselect_b32 s6, s7, s6
	s_add_i32 s1, s0, 1
	s_cmp_ge_u32 s6, s34
	s_cselect_b32 s28, s1, s0
.LBB0_11:
	s_lshl_b64 s[0:1], s[18:19], 3
	s_add_u32 s2, s2, s0
	s_addc_u32 s3, s3, s1
	s_load_dword s2, s[2:3], 0x0
	s_add_u32 s6, s26, s0
	s_addc_u32 s7, s27, s1
	s_add_u32 s0, s4, 8
	v_mov_b32_e32 v1, s24
	s_addc_u32 s1, s5, 0
	v_mov_b32_e32 v2, s25
	v_and_b32_e32 v33, 7, v0
	v_cmp_le_u64_e32 vcc, s[0:1], v[1:2]
	s_movk_i32 s0, 0x9f
	v_or_b32_e32 v31, s4, v33
	s_waitcnt lgkmcnt(0)
	s_mul_i32 s2, s2, s28
	v_mov_b32_e32 v32, s5
	v_cmp_lt_u32_e64 s[4:5], s0, v0
	s_movk_i32 s0, 0xa0
	v_add_u32_e32 v3, s2, v3
	v_cmp_gt_u32_e64 s[2:3], s0, v0
	v_cmp_gt_u64_e64 s[0:1], s[24:25], v[31:32]
	v_cndmask_b32_e64 v4, 0, 1, s[2:3]
	v_cndmask_b32_e64 v5, 0, 1, s[0:1]
	s_or_b64 s[4:5], s[4:5], vcc
	v_cndmask_b32_e64 v4, v5, v4, s[4:5]
	v_lshrrev_b32_e32 v34, 3, v0
	v_and_b32_e32 v4, 1, v4
	v_cmp_eq_u32_e64 s[4:5], 1, v4
	v_add_u32_e32 v4, 20, v34
	v_mul_lo_u32 v1, s22, v33
	v_mul_lo_u32 v4, s20, v4
	v_lshlrev_b32_e32 v3, 4, v3
	s_mov_b32 s27, 0x20000
	s_mov_b32 s26, -2
	v_add_lshl_u32 v4, v1, v4, 4
	s_mov_b32 s24, s12
	s_mov_b32 s25, s13
	v_readfirstlane_b32 s12, v3
	v_cndmask_b32_e64 v4, -1, v4, s[4:5]
	v_add_u32_e32 v3, 40, v34
	v_add_u32_e32 v9, 0x50, v34
	v_mul_lo_u32 v2, s20, v34
	v_mul_lo_u32 v3, s20, v3
	buffer_load_dwordx4 v[5:8], v4, s[24:27], s12 offen
	v_add_u32_e32 v4, 60, v34
	v_mul_lo_u32 v4, s20, v4
	v_mul_lo_u32 v9, s20, v9
	v_add_lshl_u32 v2, v1, v2, 4
	v_add_lshl_u32 v3, v1, v3, 4
	;; [unrolled: 1-line block ×4, first 2 shown]
	v_cndmask_b32_e64 v1, -1, v1, s[4:5]
	v_cndmask_b32_e64 v2, -1, v2, s[4:5]
	;; [unrolled: 1-line block ×4, first 2 shown]
	buffer_load_dwordx4 v[9:12], v1, s[24:27], s12 offen
	buffer_load_dwordx4 v[21:24], v3, s[24:27], s12 offen
	;; [unrolled: 1-line block ×4, first 2 shown]
	s_mov_b32 s4, 0x134454ff
	s_mov_b32 s5, 0x3fee6f0e
	;; [unrolled: 1-line block ×4, first 2 shown]
	v_lshlrev_b32_e32 v32, 3, v33
	s_waitcnt vmcnt(3)
	v_add_f64 v[1:2], v[5:6], v[9:10]
	s_waitcnt vmcnt(2)
	v_add_f64 v[3:4], v[21:22], -v[5:6]
	s_waitcnt vmcnt(1)
	v_add_f64 v[13:14], v[21:22], v[17:18]
	v_add_f64 v[15:16], v[17:18], -v[9:10]
	v_add_f64 v[35:36], v[23:24], -v[19:20]
	;; [unrolled: 1-line block ×4, first 2 shown]
	s_waitcnt vmcnt(0)
	v_add_f64 v[41:42], v[25:26], v[5:6]
	v_fma_f64 v[1:2], v[1:2], -0.5, v[25:26]
	v_add_f64 v[43:44], v[7:8], -v[11:12]
	v_fma_f64 v[13:14], v[13:14], -0.5, v[25:26]
	v_add_f64 v[3:4], v[3:4], v[15:16]
	v_add_f64 v[25:26], v[37:38], v[39:40]
	;; [unrolled: 1-line block ×3, first 2 shown]
	v_fma_f64 v[37:38], v[35:36], s[12:13], v[1:2]
	v_fma_f64 v[1:2], v[35:36], s[4:5], v[1:2]
	;; [unrolled: 1-line block ×4, first 2 shown]
	s_mov_b32 s4, 0x4755a5e
	s_mov_b32 s5, 0x3fe2cf23
	;; [unrolled: 1-line block ×4, first 2 shown]
	v_add_f64 v[15:16], v[15:16], v[17:18]
	v_fma_f64 v[37:38], v[43:44], s[4:5], v[37:38]
	v_fma_f64 v[41:42], v[43:44], s[12:13], v[1:2]
	;; [unrolled: 1-line block ×4, first 2 shown]
	s_mov_b32 s4, 0x372fe950
	s_mov_b32 s5, 0x3fd3c6ef
	v_add_f64 v[1:2], v[15:16], v[9:10]
	v_fma_f64 v[13:14], v[3:4], s[4:5], v[37:38]
	v_fma_f64 v[15:16], v[3:4], s[4:5], v[41:42]
	;; [unrolled: 1-line block ×4, first 2 shown]
	s_and_saveexec_b64 s[4:5], s[2:3]
	s_cbranch_execz .LBB0_13
; %bb.12:
	v_mul_u32_u24_e32 v35, 0x140, v34
	v_add3_u32 v35, 0, v35, v32
	ds_write2_b64 v35, v[1:2], v[3:4] offset1:8
	ds_write2_b64 v35, v[13:14], v[15:16] offset0:16 offset1:24
	ds_write_b64 v35, v[25:26] offset:256
.LBB0_13:
	s_or_b64 exec, exec, s[4:5]
	v_lshlrev_b32_e32 v35, 6, v34
	s_waitcnt lgkmcnt(0)
	s_barrier
	s_and_saveexec_b64 s[4:5], s[2:3]
	s_cbranch_execz .LBB0_15
; %bb.14:
	v_add3_u32 v25, 0, v35, v32
	v_add_u32_e32 v13, 0x800, v25
	ds_read2_b64 v[1:4], v25 offset1:160
	ds_read2_b64 v[13:16], v13 offset0:64 offset1:224
	ds_read_b64 v[25:26], v25 offset:5120
.LBB0_15:
	s_or_b64 exec, exec, s[4:5]
	v_add_f64 v[36:37], v[23:24], v[19:20]
	v_add_f64 v[5:6], v[5:6], -v[9:10]
	v_add_f64 v[9:10], v[7:8], v[11:12]
	v_add_f64 v[38:39], v[27:28], v[7:8]
	v_add_f64 v[17:18], v[21:22], -v[17:18]
	s_mov_b32 s4, 0x134454ff
	s_mov_b32 s5, 0xbfee6f0e
	;; [unrolled: 1-line block ×3, first 2 shown]
	v_fma_f64 v[21:22], v[36:37], -0.5, v[27:28]
	s_mov_b32 s18, s4
	v_fma_f64 v[9:10], v[9:10], -0.5, v[27:28]
	v_add_f64 v[36:37], v[7:8], -v[23:24]
	v_add_f64 v[40:41], v[11:12], -v[19:20]
	;; [unrolled: 1-line block ×3, first 2 shown]
	v_add_f64 v[23:24], v[38:39], v[23:24]
	v_add_f64 v[38:39], v[19:20], -v[11:12]
	v_fma_f64 v[27:28], v[5:6], s[4:5], v[21:22]
	v_fma_f64 v[21:22], v[5:6], s[18:19], v[21:22]
	;; [unrolled: 1-line block ×4, first 2 shown]
	s_mov_b32 s12, 0x4755a5e
	s_mov_b32 s13, 0xbfe2cf23
	;; [unrolled: 1-line block ×4, first 2 shown]
	v_add_f64 v[36:37], v[36:37], v[40:41]
	v_add_f64 v[19:20], v[23:24], v[19:20]
	v_fma_f64 v[23:24], v[17:18], s[12:13], v[27:28]
	v_fma_f64 v[17:18], v[17:18], s[4:5], v[21:22]
	;; [unrolled: 1-line block ×3, first 2 shown]
	v_add_f64 v[7:8], v[7:8], v[38:39]
	v_fma_f64 v[38:39], v[5:6], s[4:5], v[9:10]
	s_mov_b32 s4, 0x372fe950
	s_mov_b32 s5, 0x3fd3c6ef
	v_add_f64 v[9:10], v[19:20], v[11:12]
	v_fma_f64 v[11:12], v[36:37], s[4:5], v[23:24]
	v_fma_f64 v[27:28], v[36:37], s[4:5], v[17:18]
	s_waitcnt lgkmcnt(0)
	v_fma_f64 v[5:6], v[7:8], s[4:5], v[21:22]
	v_fma_f64 v[7:8], v[7:8], s[4:5], v[38:39]
	s_barrier
	s_and_saveexec_b64 s[4:5], s[2:3]
	s_cbranch_execz .LBB0_17
; %bb.16:
	v_mul_u32_u24_e32 v17, 0x140, v34
	v_add3_u32 v17, 0, v17, v32
	ds_write2_b64 v17, v[9:10], v[11:12] offset1:8
	ds_write2_b64 v17, v[5:6], v[7:8] offset0:16 offset1:24
	ds_write_b64 v17, v[27:28] offset:256
.LBB0_17:
	s_or_b64 exec, exec, s[4:5]
	s_waitcnt lgkmcnt(0)
	s_barrier
	s_and_saveexec_b64 s[4:5], s[2:3]
	s_cbranch_execz .LBB0_19
; %bb.18:
	v_add3_u32 v17, 0, v35, v32
	v_add_u32_e32 v5, 0x800, v17
	ds_read2_b64 v[9:12], v17 offset1:160
	ds_read2_b64 v[5:8], v5 offset0:64 offset1:224
	ds_read_b64 v[27:28], v17 offset:5120
.LBB0_19:
	s_or_b64 exec, exec, s[4:5]
	v_mul_lo_u16_e32 v17, 52, v34
	v_lshrrev_b16_e32 v48, 8, v17
	v_mul_lo_u16_e32 v17, 5, v48
	v_sub_u16_e32 v49, v34, v17
	v_lshlrev_b16_e32 v17, 2, v49
	v_and_b32_e32 v17, 0xfc, v17
	v_lshlrev_b32_e32 v21, 4, v17
	global_load_dwordx4 v[17:20], v21, s[30:31] offset:16
	global_load_dwordx4 v[36:39], v21, s[30:31] offset:32
	global_load_dwordx4 v[40:43], v21, s[30:31]
	global_load_dwordx4 v[44:47], v21, s[30:31] offset:48
	s_waitcnt vmcnt(0) lgkmcnt(0)
	s_barrier
	v_mul_f64 v[21:22], v[5:6], v[19:20]
	v_mul_f64 v[23:24], v[13:14], v[19:20]
	v_fma_f64 v[19:20], v[13:14], v[17:18], -v[21:22]
	v_fma_f64 v[17:18], v[5:6], v[17:18], v[23:24]
	v_mul_f64 v[5:6], v[7:8], v[38:39]
	v_mul_f64 v[13:14], v[15:16], v[38:39]
	v_fma_f64 v[21:22], v[15:16], v[36:37], -v[5:6]
	v_mul_f64 v[5:6], v[11:12], v[42:43]
	v_mul_f64 v[15:16], v[3:4], v[42:43]
	v_fma_f64 v[13:14], v[7:8], v[36:37], v[13:14]
	v_mul_f64 v[7:8], v[27:28], v[46:47]
	v_mul_f64 v[36:37], v[25:26], v[46:47]
	v_fma_f64 v[23:24], v[3:4], v[40:41], -v[5:6]
	v_fma_f64 v[15:16], v[11:12], v[40:41], v[15:16]
	v_fma_f64 v[25:26], v[25:26], v[44:45], -v[7:8]
	v_fma_f64 v[11:12], v[27:28], v[44:45], v[36:37]
	v_mad_legacy_u16 v28, v48, 25, v49
	s_and_saveexec_b64 s[4:5], s[2:3]
	s_cbranch_execz .LBB0_21
; %bb.20:
	v_add_f64 v[3:4], v[23:24], v[25:26]
	v_add_f64 v[5:6], v[19:20], v[21:22]
	v_add_f64 v[7:8], v[19:20], -v[23:24]
	v_add_f64 v[36:37], v[21:22], -v[25:26]
	v_add_f64 v[40:41], v[1:2], v[23:24]
	v_add_f64 v[42:43], v[23:24], -v[19:20]
	v_add_f64 v[44:45], v[25:26], -v[21:22]
	;; [unrolled: 1-line block ×3, first 2 shown]
	v_fma_f64 v[3:4], v[3:4], -0.5, v[1:2]
	v_fma_f64 v[1:2], v[5:6], -0.5, v[1:2]
	v_add_f64 v[38:39], v[17:18], -v[13:14]
	s_mov_b32 s12, 0x134454ff
	s_mov_b32 s13, 0x3fee6f0e
	s_mov_b32 s19, 0xbfee6f0e
	s_mov_b32 s18, s12
	v_add_f64 v[5:6], v[7:8], v[36:37]
	v_add_f64 v[36:37], v[42:43], v[44:45]
	v_fma_f64 v[42:43], v[46:47], s[12:13], v[1:2]
	v_add_f64 v[40:41], v[40:41], v[19:20]
	v_fma_f64 v[7:8], v[38:39], s[12:13], v[3:4]
	v_fma_f64 v[3:4], v[38:39], s[18:19], v[3:4]
	;; [unrolled: 1-line block ×3, first 2 shown]
	s_mov_b32 s12, 0x4755a5e
	s_mov_b32 s13, 0xbfe2cf23
	;; [unrolled: 1-line block ×4, first 2 shown]
	v_fma_f64 v[42:43], v[38:39], s[18:19], v[42:43]
	v_add_f64 v[40:41], v[40:41], v[21:22]
	v_fma_f64 v[7:8], v[46:47], s[12:13], v[7:8]
	v_fma_f64 v[3:4], v[46:47], s[18:19], v[3:4]
	;; [unrolled: 1-line block ×3, first 2 shown]
	s_mov_b32 s12, 0x372fe950
	s_mov_b32 s13, 0x3fd3c6ef
	v_fma_f64 v[38:39], v[36:37], s[12:13], v[42:43]
	v_add_f64 v[40:41], v[40:41], v[25:26]
	v_fma_f64 v[7:8], v[5:6], s[12:13], v[7:8]
	v_fma_f64 v[3:4], v[5:6], s[12:13], v[3:4]
	;; [unrolled: 1-line block ×3, first 2 shown]
	v_mov_b32_e32 v5, 6
	v_lshlrev_b32_sdwa v5, v5, v28 dst_sel:DWORD dst_unused:UNUSED_PAD src0_sel:DWORD src1_sel:BYTE_0
	v_add3_u32 v5, 0, v5, v32
	ds_write2_b64 v5, v[40:41], v[38:39] offset1:40
	ds_write2_b64 v5, v[3:4], v[7:8] offset0:80 offset1:120
	ds_write_b64 v5, v[1:2] offset:1280
.LBB0_21:
	s_or_b64 exec, exec, s[4:5]
	v_add3_u32 v27, 0, v35, v32
	v_add_u32_e32 v5, 0xc00, v27
	s_waitcnt lgkmcnt(0)
	s_barrier
	ds_read2_b64 v[1:4], v27 offset1:200
	ds_read2_b64 v[5:8], v5 offset0:16 offset1:216
	s_waitcnt lgkmcnt(0)
	s_barrier
	s_and_saveexec_b64 s[4:5], s[2:3]
	s_cbranch_execz .LBB0_23
; %bb.22:
	v_add_f64 v[35:36], v[17:18], v[13:14]
	v_add_f64 v[23:24], v[23:24], -v[25:26]
	v_add_f64 v[25:26], v[15:16], v[11:12]
	v_add_f64 v[37:38], v[9:10], v[15:16]
	v_add_f64 v[19:20], v[19:20], -v[21:22]
	s_mov_b32 s2, 0x134454ff
	s_mov_b32 s3, 0xbfee6f0e
	;; [unrolled: 1-line block ×3, first 2 shown]
	v_fma_f64 v[21:22], v[35:36], -0.5, v[9:10]
	v_add_f64 v[35:36], v[15:16], -v[17:18]
	v_fma_f64 v[9:10], v[25:26], -0.5, v[9:10]
	v_add_f64 v[25:26], v[11:12], -v[13:14]
	v_add_f64 v[15:16], v[17:18], -v[15:16]
	v_add_f64 v[17:18], v[37:38], v[17:18]
	s_mov_b32 s18, s2
	v_add_f64 v[39:40], v[13:14], -v[11:12]
	v_fma_f64 v[37:38], v[23:24], s[2:3], v[21:22]
	v_fma_f64 v[21:22], v[23:24], s[18:19], v[21:22]
	;; [unrolled: 1-line block ×4, first 2 shown]
	s_mov_b32 s12, 0x4755a5e
	s_mov_b32 s13, 0xbfe2cf23
	v_add_f64 v[25:26], v[35:36], v[25:26]
	v_add_f64 v[13:14], v[17:18], v[13:14]
	v_fma_f64 v[17:18], v[19:20], s[12:13], v[37:38]
	s_mov_b32 s3, 0x3fe2cf23
	s_mov_b32 s2, s12
	v_fma_f64 v[35:36], v[23:24], s[12:13], v[41:42]
	v_add_f64 v[15:16], v[15:16], v[39:40]
	v_fma_f64 v[9:10], v[23:24], s[2:3], v[9:10]
	v_fma_f64 v[19:20], v[19:20], s[2:3], v[21:22]
	s_mov_b32 s2, 0x372fe950
	s_mov_b32 s3, 0x3fd3c6ef
	v_add_f64 v[11:12], v[13:14], v[11:12]
	v_fma_f64 v[13:14], v[25:26], s[2:3], v[17:18]
	v_fma_f64 v[17:18], v[15:16], s[2:3], v[35:36]
	;; [unrolled: 1-line block ×4, first 2 shown]
	v_mov_b32_e32 v19, 6
	v_lshlrev_b32_sdwa v19, v19, v28 dst_sel:DWORD dst_unused:UNUSED_PAD src0_sel:DWORD src1_sel:BYTE_0
	v_add3_u32 v19, 0, v19, v32
	ds_write2_b64 v19, v[11:12], v[13:14] offset1:40
	ds_write2_b64 v19, v[17:18], v[9:10] offset0:80 offset1:120
	ds_write_b64 v19, v[15:16] offset:1280
.LBB0_23:
	s_or_b64 exec, exec, s[4:5]
	s_or_b64 s[0:1], vcc, s[0:1]
	s_waitcnt lgkmcnt(0)
	s_barrier
	s_and_saveexec_b64 s[2:3], s[0:1]
	s_cbranch_execz .LBB0_25
; %bb.24:
	v_mul_lo_u16_e32 v9, 21, v34
	v_lshrrev_b16_e32 v9, 9, v9
	v_mul_lo_u16_e32 v9, 25, v9
	v_sub_u16_e32 v9, v34, v9
	v_and_b32_e32 v9, 0xff, v9
	v_mul_u32_u24_e32 v10, 3, v9
	v_lshlrev_b32_e32 v22, 4, v10
	global_load_dwordx4 v[10:13], v22, s[30:31] offset:336
	global_load_dwordx4 v[14:17], v22, s[30:31] offset:352
	v_add_u32_e32 v18, 0xc00, v27
	ds_read2_b64 v[18:21], v18 offset0:16 offset1:216
	v_mul_lo_u32 v60, v31, v9
	v_add_u32_e32 v23, 0x4b, v9
	v_mul_lo_u32 v32, v31, v23
	v_mov_b32_e32 v26, 4
	v_mov_b32_e32 v28, 0x1000
	v_add_u32_e32 v24, 50, v9
	v_lshlrev_b32_sdwa v42, v26, v60 dst_sel:DWORD dst_unused:UNUSED_PAD src0_sel:DWORD src1_sel:BYTE_0
	v_bfe_u32 v34, v60, 8, 8
	v_mul_lo_u32 v58, v31, v24
	global_load_dwordx4 v[22:25], v22, s[30:31] offset:320
	v_lshl_or_b32 v43, v34, 4, v28
	global_load_dwordx4 v[34:37], v42, s[16:17]
	global_load_dwordx4 v[38:41], v43, s[16:17]
	v_bfe_u32 v42, v32, 8, 8
	v_lshlrev_b32_sdwa v52, v26, v32 dst_sel:DWORD dst_unused:UNUSED_PAD src0_sel:DWORD src1_sel:BYTE_0
	v_lshl_or_b32 v53, v42, 4, v28
	global_load_dwordx4 v[42:45], v52, s[16:17]
	global_load_dwordx4 v[46:49], v53, s[16:17]
	v_mov_b32_e32 v61, 0x2000
	v_mul_u32_u24_e32 v0, 0x148, v0
	s_waitcnt vmcnt(6)
	v_mul_f64 v[50:51], v[5:6], v[12:13]
	s_waitcnt lgkmcnt(0)
	v_mul_f64 v[12:13], v[18:19], v[12:13]
	s_waitcnt vmcnt(5)
	v_mul_f64 v[52:53], v[20:21], v[16:17]
	v_fma_f64 v[50:51], v[18:19], v[10:11], v[50:51]
	v_fma_f64 v[54:55], v[5:6], v[10:11], -v[12:13]
	v_mul_f64 v[5:6], v[7:8], v[16:17]
	v_lshlrev_b32_sdwa v16, v26, v58 dst_sel:DWORD dst_unused:UNUSED_PAD src0_sel:DWORD src1_sel:BYTE_0
	v_bfe_u32 v10, v58, 8, 8
	v_lshl_or_b32 v17, v10, 4, v28
	v_fma_f64 v[52:53], v[7:8], v[14:15], -v[52:53]
	s_waitcnt vmcnt(2)
	v_mul_f64 v[18:19], v[36:37], v[40:41]
	v_fma_f64 v[56:57], v[20:21], v[14:15], v[5:6]
	global_load_dwordx4 v[5:8], v16, s[16:17]
	global_load_dwordx4 v[10:13], v17, s[16:17]
	v_mul_f64 v[20:21], v[34:35], v[40:41]
	v_add_u32_e32 v14, 25, v9
	v_mul_lo_u32 v40, v31, v14
	v_bfe_u32 v15, v32, 16, 8
	v_fma_f64 v[31:32], v[34:35], v[38:39], -v[18:19]
	s_waitcnt vmcnt(2)
	v_mul_f64 v[34:35], v[44:45], v[48:49]
	v_bfe_u32 v14, v58, 16, 8
	v_lshlrev_b32_sdwa v26, v26, v40 dst_sel:DWORD dst_unused:UNUSED_PAD src0_sel:DWORD src1_sel:BYTE_0
	v_fma_f64 v[58:59], v[36:37], v[38:39], v[20:21]
	v_mul_f64 v[36:37], v[42:43], v[48:49]
	v_lshl_or_b32 v14, v14, 4, v61
	v_lshl_or_b32 v41, v15, 4, v61
	global_load_dwordx4 v[14:17], v14, s[16:17]
	v_fma_f64 v[42:43], v[42:43], v[46:47], -v[34:35]
	v_bfe_u32 v34, v40, 8, 8
	v_lshl_or_b32 v28, v34, 4, v28
	global_load_dwordx4 v[18:21], v41, s[16:17]
	v_fma_f64 v[44:45], v[44:45], v[46:47], v[36:37]
	global_load_dwordx4 v[34:37], v26, s[16:17]
	s_load_dwordx2 s[0:1], s[6:7], 0x0
	s_waitcnt lgkmcnt(0)
	s_mul_i32 s1, s1, s28
	s_waitcnt vmcnt(3)
	v_mul_f64 v[38:39], v[7:8], v[12:13]
	v_mul_f64 v[12:13], v[5:6], v[12:13]
	v_fma_f64 v[46:47], v[5:6], v[10:11], -v[38:39]
	v_fma_f64 v[48:49], v[7:8], v[10:11], v[12:13]
	global_load_dwordx4 v[5:8], v28, s[16:17]
	v_bfe_u32 v10, v60, 16, 8
	v_lshl_or_b32 v10, v10, 4, v61
	global_load_dwordx4 v[10:13], v10, s[16:17]
	v_bfe_u32 v26, v40, 16, 8
	v_lshl_or_b32 v26, v26, 4, v61
	global_load_dwordx4 v[38:41], v26, s[16:17]
	s_waitcnt vmcnt(2)
	v_mul_f64 v[60:61], v[36:37], v[7:8]
	v_mul_f64 v[7:8], v[34:35], v[7:8]
	v_fma_f64 v[60:61], v[34:35], v[5:6], -v[60:61]
	v_fma_f64 v[34:35], v[36:37], v[5:6], v[7:8]
	s_waitcnt vmcnt(1)
	v_mul_f64 v[5:6], v[58:59], v[12:13]
	v_mul_f64 v[12:13], v[31:32], v[12:13]
	v_fma_f64 v[31:32], v[10:11], v[31:32], -v[5:6]
	ds_read2_b64 v[5:8], v27 offset1:200
	v_fma_f64 v[26:27], v[10:11], v[58:59], v[12:13]
	v_mul_f64 v[12:13], v[3:4], v[24:25]
	s_waitcnt lgkmcnt(0)
	v_mul_f64 v[10:11], v[7:8], v[24:25]
	v_mad_u64_u32 v[24:25], s[2:3], s10, v33, 0
	s_mul_hi_u32 s2, s0, s28
	s_add_i32 s1, s2, s1
	v_fma_f64 v[7:8], v[7:8], v[22:23], v[12:13]
	v_add_f64 v[12:13], v[1:2], -v[54:55]
	s_movk_i32 s2, 0x64
	v_fma_f64 v[3:4], v[3:4], v[22:23], -v[10:11]
	v_add_f64 v[10:11], v[5:6], -v[50:51]
	v_mul_f64 v[22:23], v[44:45], v[20:21]
	v_mul_f64 v[20:21], v[42:43], v[20:21]
	v_mul_lo_u16_sdwa v0, v0, s2 dst_sel:DWORD dst_unused:UNUSED_PAD src0_sel:WORD_1 src1_sel:DWORD
	v_add_f64 v[50:51], v[7:8], -v[56:57]
	v_fma_f64 v[1:2], v[1:2], 2.0, -v[12:13]
	v_add_u32_e32 v9, v0, v9
	v_add_f64 v[36:37], v[3:4], -v[52:53]
	v_fma_f64 v[5:6], v[5:6], 2.0, -v[10:11]
	v_mul_f64 v[52:53], v[48:49], v[16:17]
	v_mul_f64 v[16:17], v[46:47], v[16:17]
	v_fma_f64 v[22:23], v[18:19], v[42:43], -v[22:23]
	s_waitcnt vmcnt(0)
	v_mul_f64 v[42:43], v[60:61], v[40:41]
	v_fma_f64 v[7:8], v[7:8], 2.0, -v[50:51]
	v_add_f64 v[50:51], v[12:13], -v[50:51]
	v_fma_f64 v[3:4], v[3:4], 2.0, -v[36:37]
	v_add_f64 v[36:37], v[10:11], v[36:37]
	v_fma_f64 v[18:19], v[18:19], v[44:45], v[20:21]
	v_mul_f64 v[20:21], v[34:35], v[40:41]
	v_fma_f64 v[16:17], v[14:15], v[48:49], v[16:17]
	v_fma_f64 v[34:35], v[38:39], v[34:35], v[42:43]
	v_add_f64 v[7:8], v[5:6], -v[7:8]
	v_fma_f64 v[42:43], v[12:13], 2.0, -v[50:51]
	v_add_f64 v[40:41], v[1:2], -v[3:4]
	v_fma_f64 v[10:11], v[10:11], 2.0, -v[36:37]
	v_mul_f64 v[3:4], v[50:51], v[18:19]
	v_mul_f64 v[18:19], v[36:37], v[18:19]
	v_fma_f64 v[12:13], v[14:15], v[46:47], -v[52:53]
	v_fma_f64 v[14:15], v[38:39], v[60:61], -v[20:21]
	v_fma_f64 v[46:47], v[5:6], 2.0, -v[7:8]
	v_mul_f64 v[38:39], v[42:43], v[34:35]
	v_mul_f64 v[20:21], v[40:41], v[16:17]
	;; [unrolled: 1-line block ×4, first 2 shown]
	v_fma_f64 v[44:45], v[1:2], 2.0, -v[40:41]
	v_fma_f64 v[1:2], v[50:51], v[22:23], -v[18:19]
	v_mov_b32_e32 v0, v25
	v_mul_f64 v[18:19], v[46:47], v[26:27]
	v_fma_f64 v[3:4], v[36:37], v[22:23], v[3:4]
	v_fma_f64 v[7:8], v[7:8], v[12:13], v[20:21]
	v_fma_f64 v[5:6], v[40:41], v[12:13], -v[16:17]
	v_fma_f64 v[12:13], v[10:11], v[14:15], v[38:39]
	v_fma_f64 v[10:11], v[42:43], v[14:15], -v[34:35]
	v_mul_f64 v[14:15], v[44:45], v[26:27]
	v_mad_u64_u32 v[20:21], s[2:3], s8, v9, 0
	v_mad_u64_u32 v[22:23], s[2:3], s11, v33, v[0:1]
	v_mov_b32_e32 v0, v21
	s_mul_i32 s0, s0, s28
	v_mad_u64_u32 v[26:27], s[2:3], s9, v9, v[0:1]
	s_lshl_b64 s[0:1], s[0:1], 4
	v_fma_f64 v[16:17], v[46:47], v[31:32], v[14:15]
	v_fma_f64 v[14:15], v[44:45], v[31:32], -v[18:19]
	s_add_u32 s0, s14, s0
	v_lshlrev_b64 v[18:19], 4, v[29:30]
	s_addc_u32 s1, s15, s1
	v_mov_b32_e32 v25, v22
	v_mov_b32_e32 v21, v26
	;; [unrolled: 1-line block ×3, first 2 shown]
	v_add_co_u32_e32 v26, vcc, s0, v18
	v_addc_co_u32_e32 v0, vcc, v0, v19, vcc
	v_lshlrev_b64 v[18:19], 4, v[24:25]
	v_add_u32_e32 v24, 25, v9
	v_add_co_u32_e32 v25, vcc, v26, v18
	v_addc_co_u32_e32 v26, vcc, v0, v19, vcc
	v_lshlrev_b64 v[18:19], 4, v[20:21]
	v_mad_u64_u32 v[22:23], s[0:1], s8, v24, 0
	v_add_co_u32_e32 v18, vcc, v25, v18
	v_addc_co_u32_e32 v19, vcc, v26, v19, vcc
	global_store_dwordx4 v[18:19], v[14:17], off
	v_add_u32_e32 v18, 50, v9
	v_mov_b32_e32 v0, v23
	v_mad_u64_u32 v[16:17], s[0:1], s8, v18, 0
	v_mad_u64_u32 v[20:21], s[0:1], s9, v24, v[0:1]
	v_mov_b32_e32 v0, v17
	v_mad_u64_u32 v[17:18], s[0:1], s9, v18, v[0:1]
	v_mov_b32_e32 v23, v20
	v_add_u32_e32 v20, 0x4b, v9
	v_mad_u64_u32 v[18:19], s[0:1], s8, v20, 0
	v_lshlrev_b64 v[14:15], 4, v[22:23]
	v_add_co_u32_e32 v14, vcc, v25, v14
	v_addc_co_u32_e32 v15, vcc, v26, v15, vcc
	v_mov_b32_e32 v0, v19
	global_store_dwordx4 v[14:15], v[10:13], off
	s_nop 0
	v_mad_u64_u32 v[11:12], s[0:1], s9, v20, v[0:1]
	v_lshlrev_b64 v[9:10], 4, v[16:17]
	v_add_co_u32_e32 v9, vcc, v25, v9
	v_addc_co_u32_e32 v10, vcc, v26, v10, vcc
	v_mov_b32_e32 v19, v11
	global_store_dwordx4 v[9:10], v[5:8], off
	s_nop 0
	v_lshlrev_b64 v[5:6], 4, v[18:19]
	v_add_co_u32_e32 v5, vcc, v25, v5
	v_addc_co_u32_e32 v6, vcc, v26, v6, vcc
	global_store_dwordx4 v[5:6], v[1:4], off
.LBB0_25:
	s_endpgm
	.section	.rodata,"a",@progbits
	.p2align	6, 0x0
	.amdhsa_kernel fft_rtc_fwd_len100_factors_5_5_4_wgs_200_tpt_25_halfLds_dp_op_CI_CI_sbcc_twdbase8_3step_dirReg_intrinsicRead
		.amdhsa_group_segment_fixed_size 0
		.amdhsa_private_segment_fixed_size 0
		.amdhsa_kernarg_size 112
		.amdhsa_user_sgpr_count 6
		.amdhsa_user_sgpr_private_segment_buffer 1
		.amdhsa_user_sgpr_dispatch_ptr 0
		.amdhsa_user_sgpr_queue_ptr 0
		.amdhsa_user_sgpr_kernarg_segment_ptr 1
		.amdhsa_user_sgpr_dispatch_id 0
		.amdhsa_user_sgpr_flat_scratch_init 0
		.amdhsa_user_sgpr_private_segment_size 0
		.amdhsa_uses_dynamic_stack 0
		.amdhsa_system_sgpr_private_segment_wavefront_offset 0
		.amdhsa_system_sgpr_workgroup_id_x 1
		.amdhsa_system_sgpr_workgroup_id_y 0
		.amdhsa_system_sgpr_workgroup_id_z 0
		.amdhsa_system_sgpr_workgroup_info 0
		.amdhsa_system_vgpr_workitem_id 0
		.amdhsa_next_free_vgpr 62
		.amdhsa_next_free_sgpr 51
		.amdhsa_reserve_vcc 1
		.amdhsa_reserve_flat_scratch 0
		.amdhsa_float_round_mode_32 0
		.amdhsa_float_round_mode_16_64 0
		.amdhsa_float_denorm_mode_32 3
		.amdhsa_float_denorm_mode_16_64 3
		.amdhsa_dx10_clamp 1
		.amdhsa_ieee_mode 1
		.amdhsa_fp16_overflow 0
		.amdhsa_exception_fp_ieee_invalid_op 0
		.amdhsa_exception_fp_denorm_src 0
		.amdhsa_exception_fp_ieee_div_zero 0
		.amdhsa_exception_fp_ieee_overflow 0
		.amdhsa_exception_fp_ieee_underflow 0
		.amdhsa_exception_fp_ieee_inexact 0
		.amdhsa_exception_int_div_zero 0
	.end_amdhsa_kernel
	.text
.Lfunc_end0:
	.size	fft_rtc_fwd_len100_factors_5_5_4_wgs_200_tpt_25_halfLds_dp_op_CI_CI_sbcc_twdbase8_3step_dirReg_intrinsicRead, .Lfunc_end0-fft_rtc_fwd_len100_factors_5_5_4_wgs_200_tpt_25_halfLds_dp_op_CI_CI_sbcc_twdbase8_3step_dirReg_intrinsicRead
                                        ; -- End function
	.section	.AMDGPU.csdata,"",@progbits
; Kernel info:
; codeLenInByte = 4872
; NumSgprs: 55
; NumVgprs: 62
; ScratchSize: 0
; MemoryBound: 0
; FloatMode: 240
; IeeeMode: 1
; LDSByteSize: 0 bytes/workgroup (compile time only)
; SGPRBlocks: 6
; VGPRBlocks: 15
; NumSGPRsForWavesPerEU: 55
; NumVGPRsForWavesPerEU: 62
; Occupancy: 4
; WaveLimiterHint : 1
; COMPUTE_PGM_RSRC2:SCRATCH_EN: 0
; COMPUTE_PGM_RSRC2:USER_SGPR: 6
; COMPUTE_PGM_RSRC2:TRAP_HANDLER: 0
; COMPUTE_PGM_RSRC2:TGID_X_EN: 1
; COMPUTE_PGM_RSRC2:TGID_Y_EN: 0
; COMPUTE_PGM_RSRC2:TGID_Z_EN: 0
; COMPUTE_PGM_RSRC2:TIDIG_COMP_CNT: 0
	.type	__hip_cuid_530c934e78514b77,@object ; @__hip_cuid_530c934e78514b77
	.section	.bss,"aw",@nobits
	.globl	__hip_cuid_530c934e78514b77
__hip_cuid_530c934e78514b77:
	.byte	0                               ; 0x0
	.size	__hip_cuid_530c934e78514b77, 1

	.ident	"AMD clang version 19.0.0git (https://github.com/RadeonOpenCompute/llvm-project roc-6.4.0 25133 c7fe45cf4b819c5991fe208aaa96edf142730f1d)"
	.section	".note.GNU-stack","",@progbits
	.addrsig
	.addrsig_sym __hip_cuid_530c934e78514b77
	.amdgpu_metadata
---
amdhsa.kernels:
  - .args:
      - .actual_access:  read_only
        .address_space:  global
        .offset:         0
        .size:           8
        .value_kind:     global_buffer
      - .address_space:  global
        .offset:         8
        .size:           8
        .value_kind:     global_buffer
      - .offset:         16
        .size:           8
        .value_kind:     by_value
      - .actual_access:  read_only
        .address_space:  global
        .offset:         24
        .size:           8
        .value_kind:     global_buffer
      - .actual_access:  read_only
        .address_space:  global
        .offset:         32
        .size:           8
        .value_kind:     global_buffer
      - .actual_access:  read_only
        .address_space:  global
        .offset:         40
        .size:           8
        .value_kind:     global_buffer
      - .offset:         48
        .size:           8
        .value_kind:     by_value
      - .actual_access:  read_only
        .address_space:  global
        .offset:         56
        .size:           8
        .value_kind:     global_buffer
      - .actual_access:  read_only
        .address_space:  global
        .offset:         64
        .size:           8
        .value_kind:     global_buffer
      - .offset:         72
        .size:           4
        .value_kind:     by_value
      - .actual_access:  read_only
        .address_space:  global
        .offset:         80
        .size:           8
        .value_kind:     global_buffer
      - .actual_access:  read_only
        .address_space:  global
        .offset:         88
        .size:           8
        .value_kind:     global_buffer
      - .address_space:  global
        .offset:         96
        .size:           8
        .value_kind:     global_buffer
      - .actual_access:  write_only
        .address_space:  global
        .offset:         104
        .size:           8
        .value_kind:     global_buffer
    .group_segment_fixed_size: 0
    .kernarg_segment_align: 8
    .kernarg_segment_size: 112
    .language:       OpenCL C
    .language_version:
      - 2
      - 0
    .max_flat_workgroup_size: 200
    .name:           fft_rtc_fwd_len100_factors_5_5_4_wgs_200_tpt_25_halfLds_dp_op_CI_CI_sbcc_twdbase8_3step_dirReg_intrinsicRead
    .private_segment_fixed_size: 0
    .sgpr_count:     55
    .sgpr_spill_count: 0
    .symbol:         fft_rtc_fwd_len100_factors_5_5_4_wgs_200_tpt_25_halfLds_dp_op_CI_CI_sbcc_twdbase8_3step_dirReg_intrinsicRead.kd
    .uniform_work_group_size: 1
    .uses_dynamic_stack: false
    .vgpr_count:     62
    .vgpr_spill_count: 0
    .wavefront_size: 64
amdhsa.target:   amdgcn-amd-amdhsa--gfx906
amdhsa.version:
  - 1
  - 2
...

	.end_amdgpu_metadata
